;; amdgpu-corpus repo=ROCm/rocFFT kind=compiled arch=gfx950 opt=O3
	.text
	.amdgcn_target "amdgcn-amd-amdhsa--gfx950"
	.amdhsa_code_object_version 6
	.protected	fft_rtc_fwd_len176_factors_11_16_wgs_64_tpt_16_halfLds_sp_ip_CI_unitstride_sbrr_dirReg ; -- Begin function fft_rtc_fwd_len176_factors_11_16_wgs_64_tpt_16_halfLds_sp_ip_CI_unitstride_sbrr_dirReg
	.globl	fft_rtc_fwd_len176_factors_11_16_wgs_64_tpt_16_halfLds_sp_ip_CI_unitstride_sbrr_dirReg
	.p2align	8
	.type	fft_rtc_fwd_len176_factors_11_16_wgs_64_tpt_16_halfLds_sp_ip_CI_unitstride_sbrr_dirReg,@function
fft_rtc_fwd_len176_factors_11_16_wgs_64_tpt_16_halfLds_sp_ip_CI_unitstride_sbrr_dirReg: ; @fft_rtc_fwd_len176_factors_11_16_wgs_64_tpt_16_halfLds_sp_ip_CI_unitstride_sbrr_dirReg
; %bb.0:
	s_load_dwordx2 s[8:9], s[0:1], 0x50
	s_load_dwordx4 s[4:7], s[0:1], 0x0
	s_load_dwordx2 s[10:11], s[0:1], 0x18
	v_lshrrev_b32_e32 v10, 4, v0
	v_lshl_or_b32 v6, s2, 2, v10
	v_mov_b32_e32 v4, 0
	s_waitcnt lgkmcnt(0)
	v_cmp_lt_u64_e64 s[2:3], s[6:7], 2
	v_mov_b32_e32 v7, v4
	s_and_b64 vcc, exec, s[2:3]
	v_mov_b64_e32 v[2:3], 0
	s_cbranch_vccnz .LBB0_8
; %bb.1:
	s_load_dwordx2 s[2:3], s[0:1], 0x10
	s_add_u32 s12, s10, 8
	s_addc_u32 s13, s11, 0
	s_mov_b64 s[14:15], 1
	v_mov_b64_e32 v[2:3], 0
	s_waitcnt lgkmcnt(0)
	s_add_u32 s16, s2, 8
	s_addc_u32 s17, s3, 0
.LBB0_2:                                ; =>This Inner Loop Header: Depth=1
	s_load_dwordx2 s[18:19], s[16:17], 0x0
                                        ; implicit-def: $vgpr8_vgpr9
	s_waitcnt lgkmcnt(0)
	v_or_b32_e32 v5, s19, v7
	v_cmp_ne_u64_e32 vcc, 0, v[4:5]
	s_and_saveexec_b64 s[2:3], vcc
	s_xor_b64 s[20:21], exec, s[2:3]
	s_cbranch_execz .LBB0_4
; %bb.3:                                ;   in Loop: Header=BB0_2 Depth=1
	v_cvt_f32_u32_e32 v1, s18
	v_cvt_f32_u32_e32 v5, s19
	s_sub_u32 s2, 0, s18
	s_subb_u32 s3, 0, s19
	v_fmac_f32_e32 v1, 0x4f800000, v5
	v_rcp_f32_e32 v1, v1
	s_nop 0
	v_mul_f32_e32 v1, 0x5f7ffffc, v1
	v_mul_f32_e32 v5, 0x2f800000, v1
	v_trunc_f32_e32 v5, v5
	v_fmac_f32_e32 v1, 0xcf800000, v5
	v_cvt_u32_f32_e32 v5, v5
	v_cvt_u32_f32_e32 v1, v1
	v_mul_lo_u32 v8, s2, v5
	v_mul_hi_u32 v11, s2, v1
	v_mul_lo_u32 v9, s3, v1
	v_add_u32_e32 v11, v11, v8
	v_mul_lo_u32 v14, s2, v1
	v_add_u32_e32 v11, v11, v9
	v_mul_hi_u32 v8, v1, v14
	v_mul_hi_u32 v13, v1, v11
	v_mul_lo_u32 v12, v1, v11
	v_mov_b32_e32 v9, v4
	v_lshl_add_u64 v[8:9], v[8:9], 0, v[12:13]
	v_mul_hi_u32 v13, v5, v14
	v_mul_lo_u32 v14, v5, v14
	v_add_co_u32_e32 v8, vcc, v8, v14
	v_mul_hi_u32 v12, v5, v11
	s_nop 0
	v_addc_co_u32_e32 v8, vcc, v9, v13, vcc
	v_mov_b32_e32 v9, v4
	s_nop 0
	v_addc_co_u32_e32 v13, vcc, 0, v12, vcc
	v_mul_lo_u32 v12, v5, v11
	v_lshl_add_u64 v[8:9], v[8:9], 0, v[12:13]
	v_add_co_u32_e32 v1, vcc, v1, v8
	v_mul_lo_u32 v12, s2, v1
	s_nop 0
	v_addc_co_u32_e32 v5, vcc, v5, v9, vcc
	v_mul_lo_u32 v8, s2, v5
	v_mul_hi_u32 v9, s2, v1
	v_add_u32_e32 v8, v9, v8
	v_mul_lo_u32 v9, s3, v1
	v_add_u32_e32 v11, v8, v9
	v_mul_hi_u32 v15, v5, v12
	v_mul_lo_u32 v16, v5, v12
	v_mul_hi_u32 v9, v1, v11
	v_mul_lo_u32 v8, v1, v11
	v_mul_hi_u32 v12, v1, v12
	v_mov_b32_e32 v13, v4
	v_lshl_add_u64 v[8:9], v[12:13], 0, v[8:9]
	v_add_co_u32_e32 v8, vcc, v8, v16
	v_mul_hi_u32 v14, v5, v11
	s_nop 0
	v_addc_co_u32_e32 v8, vcc, v9, v15, vcc
	v_mul_lo_u32 v12, v5, v11
	s_nop 0
	v_addc_co_u32_e32 v13, vcc, 0, v14, vcc
	v_mov_b32_e32 v9, v4
	v_lshl_add_u64 v[8:9], v[8:9], 0, v[12:13]
	v_add_co_u32_e32 v1, vcc, v1, v8
	v_mul_hi_u32 v12, v6, v1
	s_nop 0
	v_addc_co_u32_e32 v5, vcc, v5, v9, vcc
	v_mad_u64_u32 v[8:9], s[2:3], v6, v5, 0
	v_mov_b32_e32 v13, v4
	v_lshl_add_u64 v[8:9], v[12:13], 0, v[8:9]
	v_mad_u64_u32 v[14:15], s[2:3], v7, v1, 0
	v_add_co_u32_e32 v1, vcc, v8, v14
	v_mad_u64_u32 v[12:13], s[2:3], v7, v5, 0
	s_nop 0
	v_addc_co_u32_e32 v8, vcc, v9, v15, vcc
	v_mov_b32_e32 v9, v4
	s_nop 0
	v_addc_co_u32_e32 v13, vcc, 0, v13, vcc
	v_lshl_add_u64 v[8:9], v[8:9], 0, v[12:13]
	v_mul_lo_u32 v1, s19, v8
	v_mul_lo_u32 v5, s18, v9
	v_mad_u64_u32 v[12:13], s[2:3], s18, v8, 0
	v_add3_u32 v1, v13, v5, v1
	v_sub_u32_e32 v5, v7, v1
	v_mov_b32_e32 v11, s19
	v_sub_co_u32_e32 v16, vcc, v6, v12
	v_lshl_add_u64 v[14:15], v[8:9], 0, 1
	s_nop 0
	v_subb_co_u32_e64 v5, s[2:3], v5, v11, vcc
	v_subrev_co_u32_e64 v11, s[2:3], s18, v16
	v_subb_co_u32_e32 v1, vcc, v7, v1, vcc
	s_nop 0
	v_subbrev_co_u32_e64 v5, s[2:3], 0, v5, s[2:3]
	v_cmp_le_u32_e64 s[2:3], s19, v5
	v_cmp_le_u32_e32 vcc, s19, v1
	s_nop 0
	v_cndmask_b32_e64 v12, 0, -1, s[2:3]
	v_cmp_le_u32_e64 s[2:3], s18, v11
	s_nop 1
	v_cndmask_b32_e64 v11, 0, -1, s[2:3]
	v_cmp_eq_u32_e64 s[2:3], s19, v5
	s_nop 1
	v_cndmask_b32_e64 v5, v12, v11, s[2:3]
	v_lshl_add_u64 v[12:13], v[8:9], 0, 2
	v_cmp_ne_u32_e64 s[2:3], 0, v5
	v_cndmask_b32_e64 v11, 0, -1, vcc
	v_cmp_le_u32_e32 vcc, s18, v16
	v_cndmask_b32_e64 v5, v15, v13, s[2:3]
	s_nop 0
	v_cndmask_b32_e64 v13, 0, -1, vcc
	v_cmp_eq_u32_e32 vcc, s19, v1
	s_nop 1
	v_cndmask_b32_e32 v1, v11, v13, vcc
	v_cmp_ne_u32_e32 vcc, 0, v1
	v_cndmask_b32_e64 v1, v14, v12, s[2:3]
	s_nop 0
	v_cndmask_b32_e32 v9, v9, v5, vcc
	v_cndmask_b32_e32 v8, v8, v1, vcc
.LBB0_4:                                ;   in Loop: Header=BB0_2 Depth=1
	s_andn2_saveexec_b64 s[2:3], s[20:21]
	s_cbranch_execz .LBB0_6
; %bb.5:                                ;   in Loop: Header=BB0_2 Depth=1
	v_cvt_f32_u32_e32 v1, s18
	s_sub_i32 s20, 0, s18
	v_rcp_iflag_f32_e32 v1, v1
	s_nop 0
	v_mul_f32_e32 v1, 0x4f7ffffe, v1
	v_cvt_u32_f32_e32 v1, v1
	v_mul_lo_u32 v5, s20, v1
	v_mul_hi_u32 v5, v1, v5
	v_add_u32_e32 v1, v1, v5
	v_mul_hi_u32 v1, v6, v1
	v_mul_lo_u32 v5, v1, s18
	v_sub_u32_e32 v5, v6, v5
	v_add_u32_e32 v8, 1, v1
	v_subrev_u32_e32 v9, s18, v5
	v_cmp_le_u32_e32 vcc, s18, v5
	s_nop 1
	v_cndmask_b32_e32 v5, v5, v9, vcc
	v_cndmask_b32_e32 v1, v1, v8, vcc
	v_add_u32_e32 v8, 1, v1
	v_cmp_le_u32_e32 vcc, s18, v5
	v_mov_b32_e32 v9, v4
	s_nop 0
	v_cndmask_b32_e32 v8, v1, v8, vcc
.LBB0_6:                                ;   in Loop: Header=BB0_2 Depth=1
	s_or_b64 exec, exec, s[2:3]
	v_mad_u64_u32 v[12:13], s[2:3], v8, s18, 0
	s_load_dwordx2 s[2:3], s[12:13], 0x0
	v_mul_lo_u32 v1, v9, s18
	v_mul_lo_u32 v5, v8, s19
	v_add3_u32 v1, v13, v5, v1
	v_sub_co_u32_e32 v5, vcc, v6, v12
	s_add_u32 s14, s14, 1
	s_nop 0
	v_subb_co_u32_e32 v1, vcc, v7, v1, vcc
	s_addc_u32 s15, s15, 0
	s_waitcnt lgkmcnt(0)
	v_mul_lo_u32 v1, s2, v1
	v_mul_lo_u32 v6, s3, v5
	v_mad_u64_u32 v[2:3], s[2:3], s2, v5, v[2:3]
	s_add_u32 s12, s12, 8
	v_add3_u32 v3, v6, v3, v1
	s_addc_u32 s13, s13, 0
	v_mov_b64_e32 v[6:7], s[6:7]
	s_add_u32 s16, s16, 8
	v_cmp_ge_u64_e32 vcc, s[14:15], v[6:7]
	s_addc_u32 s17, s17, 0
	s_cbranch_vccnz .LBB0_9
; %bb.7:                                ;   in Loop: Header=BB0_2 Depth=1
	v_mov_b64_e32 v[6:7], v[8:9]
	s_branch .LBB0_2
.LBB0_8:
	v_mov_b64_e32 v[8:9], v[6:7]
.LBB0_9:
	s_lshl_b64 s[2:3], s[6:7], 3
	s_add_u32 s2, s10, s2
	s_addc_u32 s3, s11, s3
	s_load_dwordx2 s[6:7], s[2:3], 0x0
	s_load_dwordx2 s[10:11], s[0:1], 0x20
	v_and_b32_e32 v19, 15, v0
	v_mov_b64_e32 v[16:17], 0
                                        ; implicit-def: $vgpr34
                                        ; implicit-def: $vgpr38
                                        ; implicit-def: $vgpr30
                                        ; implicit-def: $vgpr32
                                        ; implicit-def: $vgpr26
                                        ; implicit-def: $vgpr28
                                        ; implicit-def: $vgpr36
                                        ; implicit-def: $vgpr40
                                        ; implicit-def: $vgpr42
                                        ; implicit-def: $vgpr24
	s_waitcnt lgkmcnt(0)
	v_mul_lo_u32 v1, s6, v9
	v_mul_lo_u32 v4, s7, v8
	v_mad_u64_u32 v[2:3], s[0:1], s6, v8, v[2:3]
	v_add3_u32 v3, v4, v3, v1
	v_cmp_gt_u64_e32 vcc, s[10:11], v[8:9]
	v_lshl_add_u64 v[0:1], v[2:3], 3, s[8:9]
	v_lshlrev_b32_e32 v2, 3, v19
	s_and_saveexec_b64 s[0:1], vcc
	s_cbranch_execz .LBB0_11
; %bb.10:
	v_mov_b32_e32 v3, 0
	v_lshl_add_u64 v[4:5], v[0:1], 0, v[2:3]
	global_load_dwordx2 v[38:39], v[4:5], off offset:384
	global_load_dwordx2 v[6:7], v[4:5], off offset:128
	;; [unrolled: 1-line block ×6, first 2 shown]
	global_load_dwordx2 v[16:17], v[4:5], off
	global_load_dwordx2 v[40:41], v[4:5], off offset:1024
	global_load_dwordx2 v[14:15], v[4:5], off offset:1152
	;; [unrolled: 1-line block ×4, first 2 shown]
	s_waitcnt vmcnt(10)
	v_mov_b32_e32 v34, v39
	s_waitcnt vmcnt(9)
	v_mov_b32_e32 v35, v7
	v_mov_b32_e32 v39, v6
	s_waitcnt vmcnt(8)
	v_mov_b32_e32 v30, v27
	s_waitcnt vmcnt(7)
	;; [unrolled: 2-line block ×4, first 2 shown]
	v_mov_b32_e32 v33, v13
	v_mov_b32_e32 v27, v8
	;; [unrolled: 1-line block ×3, first 2 shown]
	s_waitcnt vmcnt(3)
	v_mov_b32_e32 v36, v41
	s_waitcnt vmcnt(2)
	v_mov_b32_e32 v37, v15
	v_mov_b32_e32 v41, v14
.LBB0_11:
	s_or_b64 exec, exec, s[0:1]
	v_add_f32_e32 v3, v39, v16
	s_waitcnt vmcnt(1)
	v_add_f32_e32 v4, v42, v3
	s_waitcnt vmcnt(0)
	v_mov_b32_e32 v5, v24
	v_mul_u32_u24_e32 v6, 0xb0, v10
	v_pk_add_f32 v[12:13], v[34:35], v[24:25] neg_lo:[0,1] neg_hi:[0,1]
	v_mov_b32_e32 v10, v38
	v_mov_b32_e32 v11, v42
	s_mov_b32 s6, 0xbe11bafb
	v_pk_add_f32 v[48:49], v[38:39], v[4:5]
	v_mov_b32_e32 v5, 0x3f575c64
	v_mov_b32_e32 v4, v27
	v_mul_f32_e32 v9, 0xbf0a6770, v13
	v_pk_add_f32 v[14:15], v[10:11], v[40:41]
	v_mov_b32_e32 v10, v34
	v_mov_b32_e32 v11, v43
	s_mov_b32 s7, 0x3ed4b147
	s_mov_b32 s0, 0xbf7d64f0
	v_pk_add_f32 v[50:51], v[4:5], v[48:49]
	v_mov_b32_e32 v8, v26
	v_pk_add_f32 v[20:21], v[10:11], v[36:37] neg_lo:[0,1] neg_hi:[0,1]
	v_pk_mul_f32 v[10:11], v[14:15], s[6:7]
	s_mov_b32 s1, 0xbf68dda4
	v_pk_mul_f32 v[52:53], v[4:5], v[48:49]
	v_pk_add_f32 v[50:51], v[50:51], v[26:27]
	v_pk_fma_f32 v[4:5], v[4:5], v[48:49], v[8:9] neg_lo:[0,0,1] neg_hi:[0,0,1]
	v_pk_fma_f32 v[22:23], v[20:21], s[0:1], v[10:11] neg_lo:[1,0,0] neg_hi:[1,0,0]
	v_mov_b32_e32 v51, v5
	v_mov_b32_e32 v4, v28
	;; [unrolled: 1-line block ×3, first 2 shown]
	v_pk_add_f32 v[4:5], v[4:5], v[50:51]
	v_fmac_f32_e32 v53, 0xbf0a6770, v13
	v_mov_b32_e32 v8, v29
	v_mov_b32_e32 v9, v23
	v_pk_fma_f32 v[10:11], v[20:21], s[0:1], v[10:11]
	v_pk_add_f32 v[44:45], v[26:27], v[28:29]
	v_add_f32_e32 v3, v53, v16
	v_pk_add_f32 v[4:5], v[8:9], v[4:5]
	v_mov_b32_e32 v8, v40
	v_mov_b32_e32 v9, v22
	s_mov_b32 s11, 0xbf27a4f4
	s_mov_b32 s10, 0xbf75a155
	v_pk_add_f32 v[46:47], v[30:31], v[32:33] neg_lo:[0,1] neg_hi:[0,1]
	v_add_f32_e32 v3, v11, v3
	v_pk_add_f32 v[4:5], v[8:9], v[4:5]
	v_pk_mul_f32 v[8:9], v[44:45], s[10:11]
	s_mov_b32 s13, 0xbf4178ce
	s_mov_b32 s12, 0xbe903f40
	v_add_f32_e32 v3, v10, v3
	v_pk_fma_f32 v[10:11], v[46:47], s[12:13], v[8:9] neg_lo:[1,0,0] neg_hi:[1,0,0]
	v_pk_fma_f32 v[8:9], v[46:47], s[12:13], v[8:9]
	s_mov_b32 s24, s7
	s_mov_b32 s25, s6
	v_mov_b32_e32 v22, v41
	v_mov_b32_e32 v23, v11
	v_add_f32_e32 v3, v9, v3
	s_mov_b32 s14, s1
	s_mov_b32 s15, s0
	s_mov_b32 s16, s11
	s_mov_b32 s17, s10
	v_pk_mul_f32 v[56:57], v[48:49], s[24:25] op_sel:[1,0]
	v_pk_add_f32 v[4:5], v[22:23], v[4:5]
	v_mov_b32_e32 v22, v24
	v_mov_b32_e32 v23, v10
	v_add_f32_e32 v7, v8, v3
	v_pk_mul_f32 v[8:9], v[14:15], s[16:17] op_sel:[1,0]
	s_mov_b32 s19, 0x3e903f40
	s_mov_b32 s18, s13
	;; [unrolled: 1-line block ×4, first 2 shown]
	v_pk_fma_f32 v[58:59], v[12:13], s[14:15], v[56:57] op_sel:[1,0,0] neg_lo:[1,0,0] neg_hi:[1,0,0]
	s_mov_b32 s2, 0x3f7d64f0
	s_mov_b32 s9, 0x3f575c64
	v_pk_add_f32 v[4:5], v[22:23], v[4:5]
	v_pk_fma_f32 v[10:11], v[20:21], s[18:19], v[8:9] op_sel:[1,0,0] neg_lo:[1,0,0] neg_hi:[1,0,0]
	v_pk_mul_f32 v[22:23], v[14:15], s[20:21] op_sel_hi:[0,1]
	s_mov_b32 s23, 0x3f68dda4
	s_mov_b32 s22, s19
	;; [unrolled: 1-line block ×3, first 2 shown]
	v_pk_add_f32 v[58:59], v[58:59], v[16:17] op_sel_hi:[1,0]
	s_mov_b32 s3, 0xbf0a6770
	v_pk_fma_f32 v[50:51], v[20:21], s[22:23], v[22:23] op_sel_hi:[0,1,1] neg_lo:[1,0,0] neg_hi:[1,0,0]
	v_pk_mul_f32 v[52:53], v[44:45], s[8:9] op_sel:[1,0]
	v_pk_add_f32 v[10:11], v[10:11], v[58:59]
	s_mov_b32 s10, s9
	v_pk_fma_f32 v[54:55], v[46:47], s[2:3], v[52:53] op_sel:[1,0,0] neg_lo:[1,0,0] neg_hi:[1,0,0]
	v_pk_add_f32 v[10:11], v[50:51], v[10:11]
	v_pk_mul_f32 v[50:51], v[44:45], s[10:11] op_sel_hi:[0,1]
	s_mov_b32 s6, 0x3f0a6770
	s_mov_b32 s7, s13
	v_pk_add_f32 v[10:11], v[54:55], v[10:11]
	v_pk_fma_f32 v[54:55], v[46:47], s[6:7], v[50:51] op_sel_hi:[0,1,1] neg_lo:[1,0,0] neg_hi:[1,0,0]
	v_pk_add_f32 v[10:11], v[54:55], v[10:11]
	v_pk_fma_f32 v[54:55], v[12:13], s[14:15], v[56:57] op_sel:[1,0,0]
	v_pk_fma_f32 v[8:9], v[20:21], s[18:19], v[8:9] op_sel:[1,0,0]
	v_pk_add_f32 v[54:55], v[54:55], v[16:17] op_sel_hi:[1,0]
	v_pk_fma_f32 v[22:23], v[20:21], s[22:23], v[22:23] op_sel_hi:[0,1,1]
	v_pk_add_f32 v[8:9], v[8:9], v[54:55]
	v_pk_fma_f32 v[52:53], v[46:47], s[2:3], v[52:53] op_sel:[1,0,0]
	v_pk_add_f32 v[8:9], v[22:23], v[8:9]
	v_pk_fma_f32 v[22:23], v[46:47], s[6:7], v[50:51] op_sel_hi:[0,1,1]
	v_pk_add_f32 v[8:9], v[52:53], v[8:9]
	s_mov_b32 s14, s13
	s_mov_b32 s15, s12
	v_pk_mul_f32 v[48:49], v[48:49], s[16:17] op_sel:[1,0]
	v_pk_add_f32 v[8:9], v[22:23], v[8:9]
	v_pk_mul_f32 v[22:23], v[14:15], s[8:9] op_sel:[1,0]
	s_mov_b32 s8, s2
	s_mov_b32 s9, s6
	v_pk_fma_f32 v[58:59], v[12:13], s[14:15], v[48:49] op_sel:[1,0,0] neg_lo:[1,0,0] neg_hi:[1,0,0]
	v_pk_fma_f32 v[50:51], v[20:21], s[8:9], v[22:23] op_sel:[1,0,0] neg_lo:[1,0,0] neg_hi:[1,0,0]
	v_pk_mul_f32 v[52:53], v[14:15], s[10:11] op_sel_hi:[0,1]
	s_mov_b32 s2, s3
	s_mov_b32 s3, s13
	v_pk_add_f32 v[58:59], v[58:59], v[16:17] op_sel_hi:[1,0]
	v_pk_fma_f32 v[14:15], v[20:21], s[2:3], v[52:53] op_sel_hi:[0,1,1] neg_lo:[1,0,0] neg_hi:[1,0,0]
	v_pk_mul_f32 v[54:55], v[44:45], s[20:21] op_sel:[1,0]
	s_mov_b32 s13, s23
	v_pk_add_f32 v[50:51], v[50:51], v[58:59]
	v_pk_fma_f32 v[12:13], v[12:13], s[14:15], v[48:49] op_sel:[1,0,0]
	v_pk_fma_f32 v[56:57], v[46:47], s[12:13], v[54:55] op_sel:[1,0,0] neg_lo:[1,0,0] neg_hi:[1,0,0]
	v_pk_add_f32 v[14:15], v[14:15], v[50:51]
	v_pk_mul_f32 v[44:45], v[44:45], s[24:25] op_sel_hi:[0,1]
	s_mov_b32 s6, s23
	s_mov_b32 s7, s0
	v_pk_fma_f32 v[22:23], v[20:21], s[8:9], v[22:23] op_sel:[1,0,0]
	v_pk_add_f32 v[12:13], v[12:13], v[16:17] op_sel_hi:[1,0]
	v_pk_add_f32 v[14:15], v[56:57], v[14:15]
	v_pk_fma_f32 v[50:51], v[46:47], s[6:7], v[44:45] op_sel_hi:[0,1,1] neg_lo:[1,0,0] neg_hi:[1,0,0]
	v_pk_fma_f32 v[20:21], v[20:21], s[2:3], v[52:53] op_sel_hi:[0,1,1]
	v_pk_add_f32 v[12:13], v[22:23], v[12:13]
	v_pk_add_f32 v[14:15], v[50:51], v[14:15]
	v_pk_fma_f32 v[50:51], v[46:47], s[12:13], v[54:55] op_sel:[1,0,0]
	v_pk_add_f32 v[12:13], v[20:21], v[12:13]
	v_pk_fma_f32 v[20:21], v[46:47], s[6:7], v[44:45] op_sel_hi:[0,1,1]
	v_pk_add_f32 v[12:13], v[50:51], v[12:13]
	v_cmp_gt_u32_e64 s[0:1], 11, v19
	v_pk_add_f32 v[12:13], v[20:21], v[12:13]
	v_mad_u32_u24 v21, v19, 44, 0
	v_lshl_add_u32 v3, v6, 2, v21
	v_cmp_lt_u32_e64 s[2:3], 10, v19
	ds_write2_b32 v3, v4, v5 offset1:1
	ds_write2_b32 v3, v10, v11 offset0:2 offset1:3
	ds_write2_b32 v3, v14, v15 offset0:4 offset1:5
	;; [unrolled: 1-line block ×4, first 2 shown]
	ds_write_b32 v3, v7 offset:40
	s_waitcnt lgkmcnt(0)
	; wave barrier
	s_waitcnt lgkmcnt(0)
	s_and_saveexec_b64 s[6:7], s[2:3]
	s_xor_b64 s[6:7], exec, s[6:7]
; %bb.12:
                                        ; implicit-def: $vgpr21
; %bb.13:
	s_or_saveexec_b64 s[6:7], s[6:7]
	v_lshlrev_b32_e32 v44, 2, v6
	v_lshlrev_b32_e32 v45, 2, v19
                                        ; implicit-def: $vgpr20
                                        ; implicit-def: $vgpr22
                                        ; implicit-def: $vgpr18
	s_xor_b64 exec, exec, s[6:7]
	s_cbranch_execz .LBB0_15
; %bb.14:
	v_mul_i32_i24_e32 v5, 0xffffffd8, v19
	v_add3_u32 v4, 0, v44, v45
	v_add3_u32 v5, v21, v5, v44
	ds_read2_b32 v[10:11], v5 offset0:11 offset1:22
	ds_read2_b32 v[14:15], v5 offset0:33 offset1:44
	;; [unrolled: 1-line block ×7, first 2 shown]
	ds_read_b32 v4, v4
	ds_read_b32 v18, v5 offset:660
	s_waitcnt lgkmcnt(8)
	v_mov_b32_e32 v5, v10
	v_mov_b32_e32 v10, v11
	s_waitcnt lgkmcnt(7)
	v_mov_b32_e32 v11, v14
	v_mov_b32_e32 v14, v15
	s_waitcnt lgkmcnt(6)
	v_mov_b32_e32 v15, v12
	s_waitcnt lgkmcnt(5)
	v_mov_b32_e32 v12, v8
	s_waitcnt lgkmcnt(4)
	v_mov_b32_e32 v8, v6
.LBB0_15:
	s_or_b64 exec, exec, s[6:7]
	v_add_f32_e32 v6, v35, v17
	v_mov_b32_e32 v50, v41
	v_mov_b32_e32 v51, v37
	v_add_f32_e32 v46, v43, v6
	v_pk_add_f32 v[52:53], v[42:43], v[50:51]
	v_pk_add_f32 v[42:43], v[42:43], v[50:51] neg_lo:[0,1] neg_hi:[0,1]
	v_mov_b32_e32 v50, v53
	v_mov_b32_e32 v51, v42
	s_mov_b32 s9, 0x3e903f40
	s_mov_b32 s8, 0xbf75a155
	v_pk_mul_f32 v[54:55], v[50:51], s[8:9]
	v_mov_b32_e32 v56, v34
	v_mov_b32_e32 v41, v54
	;; [unrolled: 1-line block ×5, first 2 shown]
	v_pk_fma_f32 v[50:51], v[50:51], s[8:9], v[40:41] neg_lo:[1,0,0] neg_hi:[1,0,0]
	v_pk_add_f32 v[40:41], v[56:57], v[58:59]
	v_pk_add_f32 v[56:57], v[56:57], v[58:59] neg_lo:[0,1] neg_hi:[0,1]
	v_mov_b32_e32 v58, v40
	v_mov_b32_e32 v59, v57
	s_mov_b32 s11, 0x3f68dda4
	s_mov_b32 s10, 0x3ed4b147
	v_pk_mul_f32 v[60:61], v[58:59], s[10:11]
	v_mov_b32_e32 v6, v39
	v_mov_b32_e32 v47, v60
	v_pk_fma_f32 v[58:59], v[58:59], s[10:11], v[46:47] neg_lo:[1,0,0] neg_hi:[1,0,0]
	v_mov_b32_e32 v47, v25
	v_pk_add_f32 v[48:49], v[6:7], v[24:25] neg_lo:[0,1] neg_hi:[0,1]
	v_mov_b32_e32 v62, v31
	v_mov_b32_e32 v63, v27
	v_mov_b32_e32 v64, v33
	v_mov_b32_e32 v65, v29
	v_pk_add_f32 v[34:35], v[34:35], v[46:47]
	v_mov_b32_e32 v47, 0xbe11bafb
	v_mov_b32_e32 v46, v31
	v_mul_f32_e32 v39, 0xbf7d64f0, v48
	v_pk_add_f32 v[66:67], v[62:63], v[64:65]
	v_pk_add_f32 v[62:63], v[62:63], v[64:65] neg_lo:[0,1] neg_hi:[0,1]
	s_mov_b32 s14, 0x3f575c64
	s_mov_b32 s13, 0xbe11bafb
	v_pk_add_f32 v[46:47], v[46:47], v[34:35]
	v_mov_b32_e32 v38, v30
	v_mov_b32_e32 v64, v66
	;; [unrolled: 1-line block ×3, first 2 shown]
	s_mov_b32 s15, 0xbf0a6770
	v_pk_add_f32 v[46:47], v[46:47], v[30:31]
	v_pk_fma_f32 v[72:73], v[34:35], s[12:13], v[38:39] neg_lo:[0,0,1] neg_hi:[0,0,1]
	v_pk_mul_f32 v[68:69], v[64:65], s[14:15]
	v_mov_b32_e32 v47, v73
	v_mov_b32_e32 v72, v32
	;; [unrolled: 1-line block ×4, first 2 shown]
	v_pk_add_f32 v[46:47], v[72:73], v[46:47]
	v_mov_b32_e32 v50, v33
	v_pk_fma_f32 v[64:65], v[64:65], s[14:15], v[26:27] neg_lo:[1,0,0] neg_hi:[1,0,0]
	v_pk_add_f32 v[46:47], v[50:51], v[46:47]
	v_mov_b32_e32 v58, v36
	v_pk_add_f32 v[46:47], v[58:59], v[46:47]
	v_mov_b32_e32 v64, v37
	s_mov_b32 s20, 0xbf68dda4
	s_mov_b32 s21, s15
	v_pk_add_f32 v[36:37], v[64:65], v[46:47]
	v_pk_mul_f32 v[46:47], v[48:49], s[20:21] op_sel_hi:[0,1]
	s_mov_b32 s18, 0xbf4178ce
	s_mov_b32 s19, s20
	;; [unrolled: 1-line block ×7, first 2 shown]
	v_pk_mul_f32 v[58:59], v[42:43], s[18:19] op_sel_hi:[0,1]
	s_mov_b32 s6, s9
	v_pk_fma_f32 v[78:79], v[34:35], s[24:25], v[46:47] op_sel:[1,0,0] neg_lo:[0,0,1] neg_hi:[0,0,1]
	v_pk_mul_f32 v[70:71], v[34:35], s[12:13]
	v_pk_fma_f32 v[64:65], v[52:53], s[16:17], v[58:59] op_sel:[1,0,0] neg_lo:[0,0,1] neg_hi:[0,0,1]
	s_mov_b32 s12, s8
	v_pk_mul_f32 v[74:75], v[56:57], s[6:7] op_sel:[1,0]
	s_mov_b32 s20, 0x3f7d64f0
	s_mov_b32 s21, s18
	v_pk_add_f32 v[78:79], v[78:79], v[16:17] op_sel:[0,1]
	v_pk_fma_f32 v[76:77], v[40:41], s[12:13], v[74:75] op_sel_hi:[0,1,1] neg_lo:[0,0,1] neg_hi:[0,0,1]
	s_mov_b32 s22, s13
	s_mov_b32 s23, s16
	v_pk_add_f32 v[64:65], v[64:65], v[78:79]
	v_pk_mul_f32 v[78:79], v[34:35], s[24:25] op_sel:[1,0]
	v_pk_mul_f32 v[80:81], v[62:63], s[20:21] op_sel:[1,0]
	v_mov_b32_e32 v31, v26
	v_mov_b32_e32 v33, v28
	v_pk_mul_f32 v[50:51], v[52:53], s[16:17] op_sel:[1,0]
	v_add_f32_e32 v27, v79, v47
	v_pk_add_f32 v[64:65], v[76:77], v[64:65]
	v_pk_fma_f32 v[76:77], v[66:67], s[22:23], v[80:81] op_sel_hi:[0,1,1] neg_lo:[0,0,1] neg_hi:[0,0,1]
	v_pk_add_f32 v[82:83], v[30:31], v[32:33]
	v_pk_add_f32 v[32:33], v[30:31], v[32:33] neg_lo:[0,1] neg_hi:[0,1]
	s_mov_b32 s25, 0xbe903f40
	s_mov_b32 s24, 0x3f0a6770
	v_add_f32_e32 v6, v51, v59
	v_add_f32_e32 v27, v27, v17
	v_pk_add_f32 v[64:65], v[76:77], v[64:65]
	v_pk_mul_f32 v[76:77], v[66:67], s[22:23] op_sel_hi:[0,1]
	s_mov_b32 s22, s14
	s_mov_b32 s23, s8
	v_pk_mul_f32 v[28:29], v[32:33], s[24:25] op_sel:[1,0]
	v_mov_b32_e32 v79, v71
	v_mov_b32_e32 v47, v39
	v_pk_mul_f32 v[72:73], v[40:41], s[12:13] op_sel_hi:[0,1]
	v_add_f32_e32 v6, v6, v27
	v_pk_fma_f32 v[26:27], v[82:83], s[22:23], v[28:29] op_sel_hi:[0,1,1] neg_lo:[0,0,1] neg_hi:[0,0,1]
	v_mov_b32_e32 v51, v54
	v_mov_b32_e32 v59, v55
	v_pk_add_f32 v[38:39], v[78:79], v[46:47]
	v_add_f32_e32 v24, v73, v75
	v_pk_add_f32 v[26:27], v[26:27], v[64:65]
	v_mov_b32_e32 v64, v82
	v_mov_b32_e32 v65, v33
	v_pk_add_f32 v[50:51], v[50:51], v[58:59]
	s_mov_b32 s17, s18
	v_mov_b32_e32 v73, v60
	v_mov_b32_e32 v75, v61
	v_pk_add_f32 v[38:39], v[38:39], v[16:17] op_sel:[0,1]
	v_add_f32_e32 v6, v24, v6
	v_add_f32_e32 v24, v77, v81
	v_pk_mul_f32 v[30:31], v[82:83], s[22:23] op_sel_hi:[0,1]
	v_pk_mul_f32 v[54:55], v[64:65], s[16:17]
	v_pk_add_f32 v[58:59], v[72:73], v[74:75]
	v_mov_b32_e32 v77, v68
	v_mov_b32_e32 v81, v69
	v_pk_add_f32 v[38:39], v[50:51], v[38:39]
	v_add_f32_e32 v6, v24, v6
	v_add_f32_e32 v24, v31, v29
	v_pk_add_f32 v[60:61], v[76:77], v[80:81]
	v_pk_add_f32 v[38:39], v[58:59], v[38:39]
	v_mov_b32_e32 v31, v54
	v_mov_b32_e32 v29, v55
	v_pk_add_f32 v[38:39], v[60:61], v[38:39]
	v_pk_add_f32 v[28:29], v[30:31], v[28:29]
	s_mov_b32 s22, s25
	v_pk_add_f32 v[30:31], v[28:29], v[38:39]
	v_mov_b32_e32 v29, v54
	v_pk_fma_f32 v[28:29], v[64:65], s[16:17], v[28:29] neg_lo:[1,0,0] neg_hi:[1,0,0]
	s_mov_b32 s23, s18
	v_mov_b32_e32 v28, v25
	v_pk_add_f32 v[28:29], v[28:29], v[36:37]
	v_pk_mul_f32 v[36:37], v[48:49], s[22:23] op_sel_hi:[0,1]
	s_mov_b32 s22, s24
	s_mov_b32 s23, s20
	;; [unrolled: 1-line block ×4, first 2 shown]
	v_pk_mul_f32 v[38:39], v[42:43], s[22:23] op_sel_hi:[0,1]
	s_mov_b32 s19, s15
	v_pk_fma_f32 v[50:51], v[34:35], s[8:9], v[36:37] op_sel:[1,0,0] neg_lo:[0,0,1] neg_hi:[0,0,1]
	v_pk_fma_f32 v[42:43], v[52:53], s[12:13], v[38:39] op_sel:[1,0,0] neg_lo:[0,0,1] neg_hi:[0,0,1]
	s_mov_b32 s17, s14
	v_pk_mul_f32 v[46:47], v[56:57], s[18:19] op_sel:[1,0]
	v_pk_add_f32 v[50:51], v[50:51], v[16:17] op_sel:[0,1]
	v_pk_fma_f32 v[34:35], v[34:35], s[8:9], v[36:37] op_sel:[1,0,0]
	v_pk_fma_f32 v[48:49], v[40:41], s[16:17], v[46:47] op_sel_hi:[0,1,1] neg_lo:[0,0,1] neg_hi:[0,0,1]
	v_pk_add_f32 v[42:43], v[42:43], v[50:51]
	s_mov_b32 s24, s11
	v_pk_fma_f32 v[38:39], v[52:53], s[12:13], v[38:39] op_sel:[1,0,0]
	v_pk_add_f32 v[16:17], v[34:35], v[16:17] op_sel:[0,1]
	v_pk_add_f32 v[42:43], v[48:49], v[42:43]
	s_mov_b32 s14, s10
	s_mov_b32 s15, s8
	v_pk_mul_f32 v[48:49], v[62:63], s[24:25] op_sel:[1,0]
	s_mov_b32 s19, s10
	s_mov_b32 s10, s7
	v_pk_fma_f32 v[40:41], v[40:41], s[16:17], v[46:47] op_sel_hi:[0,1,1]
	v_pk_add_f32 v[16:17], v[38:39], v[16:17]
	v_pk_fma_f32 v[50:51], v[66:67], s[14:15], v[48:49] op_sel_hi:[0,1,1] neg_lo:[0,0,1] neg_hi:[0,0,1]
	s_mov_b32 s18, s13
	v_pk_mul_f32 v[32:33], v[32:33], s[10:11] op_sel:[1,0]
	v_pk_add_f32 v[16:17], v[40:41], v[16:17]
	v_pk_fma_f32 v[34:35], v[66:67], s[14:15], v[48:49] op_sel_hi:[0,1,1]
	v_pk_add_f32 v[42:43], v[50:51], v[42:43]
	v_pk_fma_f32 v[50:51], v[82:83], s[18:19], v[32:33] op_sel_hi:[0,1,1] neg_lo:[0,0,1] neg_hi:[0,0,1]
	v_pk_add_f32 v[16:17], v[34:35], v[16:17]
	v_pk_fma_f32 v[32:33], v[82:83], s[18:19], v[32:33] op_sel_hi:[0,1,1]
	v_add_f32_e32 v24, v24, v6
	v_pk_add_f32 v[16:17], v[32:33], v[16:17]
	v_pk_add_f32 v[32:33], v[50:51], v[42:43]
	s_waitcnt lgkmcnt(0)
	; wave barrier
	s_waitcnt lgkmcnt(0)
	ds_write2_b32 v3, v28, v24 offset1:1
	ds_write2_b32 v3, v30, v31 offset0:2 offset1:3
	ds_write2_b32 v3, v17, v16 offset0:4 offset1:5
	;; [unrolled: 1-line block ×3, first 2 shown]
	v_mov_b32_e32 v6, v29
	v_mov_b32_e32 v25, v26
	ds_write2_b32 v3, v29, v26 offset0:8 offset1:9
	ds_write_b32 v3, v27 offset:40
	s_waitcnt lgkmcnt(0)
	; wave barrier
	s_waitcnt lgkmcnt(0)
	s_and_saveexec_b64 s[6:7], s[2:3]
	s_xor_b64 s[2:3], exec, s[6:7]
                                        ; implicit-def: $vgpr35
                                        ; implicit-def: $vgpr37
; %bb.16:
                                        ; implicit-def: $vgpr44
                                        ; implicit-def: $vgpr45
; %bb.17:
	s_or_saveexec_b64 s[2:3], s[2:3]
                                        ; implicit-def: $vgpr36
                                        ; implicit-def: $vgpr34
                                        ; implicit-def: $vgpr6
	s_xor_b64 exec, exec, s[2:3]
	s_cbranch_execz .LBB0_20
; %bb.18:
	v_add3_u32 v6, 0, v45, v44
	v_add3_u32 v3, 0, v44, v45
	ds_read2_b32 v[24:25], v6 offset0:11 offset1:22
	ds_read2_b32 v[38:39], v6 offset0:33 offset1:44
	;; [unrolled: 1-line block ×7, first 2 shown]
	ds_read_b32 v28, v3
	ds_read_b32 v6, v6 offset:660
	s_waitcnt lgkmcnt(5)
	v_mov_b32_e32 v29, v31
	v_mov_b32_e32 v32, v17
	;; [unrolled: 1-line block ×6, first 2 shown]
	s_or_b64 exec, exec, s[2:3]
	s_and_b64 s[0:1], vcc, s[0:1]
	s_and_saveexec_b64 s[2:3], s[0:1]
	s_cbranch_execnz .LBB0_21
.LBB0_19:
	s_endpgm
.LBB0_20:
	s_or_b64 exec, exec, s[2:3]
	s_and_b64 s[0:1], vcc, s[0:1]
	s_and_saveexec_b64 s[2:3], s[0:1]
	s_cbranch_execz .LBB0_19
.LBB0_21:
	v_mul_u32_u24_e32 v3, 15, v19
	v_lshlrev_b32_e32 v3, 3, v3
	global_load_dwordx4 v[38:41], v3, s[4:5] offset:96
	global_load_dwordx4 v[42:45], v3, s[4:5] offset:32
	;; [unrolled: 1-line block ×4, first 2 shown]
	s_waitcnt lgkmcnt(2)
	v_mov_b32_e32 v62, v35
	v_mov_b32_e32 v58, v23
	;; [unrolled: 1-line block ×6, first 2 shown]
	global_load_dwordx4 v[54:57], v3, s[4:5] offset:64
	global_load_dwordx2 v[70:71], v3, s[4:5] offset:112
	s_mov_b32 s0, 0x3f3504f3
	s_mov_b32 s2, 0x3ec3ef15
	s_waitcnt vmcnt(5)
	v_pk_mul_f32 v[62:63], v[62:63], v[40:41] op_sel_hi:[0,1]
	v_pk_fma_f32 v[58:59], v[58:59], v[40:41], v[62:63] op_sel:[0,0,1] op_sel_hi:[1,1,0] neg_lo:[0,0,1] neg_hi:[0,0,1]
	v_pk_fma_f32 v[40:41], v[60:61], v[40:41], v[62:63] op_sel:[0,0,1] op_sel_hi:[0,1,0]
	s_waitcnt vmcnt(4)
	v_pk_mul_f32 v[60:61], v[32:33], v[44:45] op_sel_hi:[0,1]
	s_waitcnt vmcnt(3)
	v_pk_mul_f32 v[62:63], v[68:69], v[48:49] op_sel_hi:[0,1]
	v_pk_mul_f32 v[36:37], v[36:37], v[46:47] op_sel_hi:[0,1]
	;; [unrolled: 1-line block ×3, first 2 shown]
	s_waitcnt vmcnt(2)
	v_pk_mul_f32 v[32:33], v[32:33], v[50:51] op_sel:[1,0]
	v_pk_fma_f32 v[64:65], v[64:65], v[48:49], v[62:63] op_sel:[0,0,1] op_sel_hi:[1,1,0] neg_lo:[0,0,1] neg_hi:[0,0,1]
	v_pk_fma_f32 v[48:49], v[66:67], v[48:49], v[62:63] op_sel:[0,0,1] op_sel_hi:[0,1,0]
	v_pk_fma_f32 v[62:63], v[20:21], v[46:47], v[36:37] op_sel:[0,0,1] op_sel_hi:[1,1,0] neg_lo:[0,0,1] neg_hi:[0,0,1]
	v_pk_fma_f32 v[36:37], v[20:21], v[46:47], v[36:37] op_sel:[0,0,1] op_sel_hi:[0,1,0]
	;; [unrolled: 2-line block ×3, first 2 shown]
	global_load_dwordx4 v[20:23], v3, s[4:5] offset:16
	s_waitcnt lgkmcnt(1)
	v_pk_mul_f32 v[34:35], v[28:29], v[52:53] op_sel:[1,0]
	v_pk_fma_f32 v[68:69], v[12:13], v[50:51], v[32:33] op_sel:[0,0,1] op_sel_hi:[1,1,0] neg_lo:[0,0,1] neg_hi:[0,0,1]
	v_pk_fma_f32 v[50:51], v[12:13], v[50:51], v[32:33] op_sel:[0,0,1] op_sel_hi:[0,1,0]
	v_pk_mul_f32 v[32:33], v[16:17], v[42:43] op_sel_hi:[0,1]
	v_pk_fma_f32 v[66:67], v[8:9], v[52:53], v[34:35] op_sel:[1,0,1] op_sel_hi:[1,1,0] neg_lo:[0,0,1] neg_hi:[0,0,1]
	v_pk_fma_f32 v[52:53], v[8:9], v[52:53], v[34:35] op_sel:[1,0,1] op_sel_hi:[1,1,0]
	v_pk_fma_f32 v[72:73], v[12:13], v[44:45], v[60:61] op_sel:[1,0,1] op_sel_hi:[1,1,0] neg_lo:[0,0,1] neg_hi:[0,0,1]
	v_pk_fma_f32 v[12:13], v[12:13], v[44:45], v[60:61] op_sel:[1,0,1] op_sel_hi:[1,1,0]
	;; [unrolled: 2-line block ×3, first 2 shown]
	global_load_dwordx4 v[32:35], v3, s[4:5]
	v_mov_b32_e32 v3, 0
	v_lshl_add_u64 v[0:1], v[0:1], 0, v[2:3]
	v_mov_b32_e32 v12, v7
	v_mov_b32_e32 v73, v13
	;; [unrolled: 1-line block ×9, first 2 shown]
	s_mov_b32 s4, 0x3f6c835e
	s_waitcnt vmcnt(1)
	v_pk_mul_f32 v[16:17], v[16:17], v[22:23] op_sel:[1,0]
	s_nop 0
	v_pk_fma_f32 v[60:61], v[14:15], v[22:23], v[16:17] op_sel:[0,0,1] op_sel_hi:[1,1,0] neg_lo:[0,0,1] neg_hi:[0,0,1]
	v_pk_fma_f32 v[14:15], v[14:15], v[22:23], v[16:17] op_sel:[0,0,1] op_sel_hi:[0,1,0]
	v_pk_mul_f32 v[16:17], v[30:31], v[20:21] op_sel:[1,0]
	v_mov_b32_e32 v14, v7
	v_pk_fma_f32 v[22:23], v[10:11], v[20:21], v[16:17] op_sel:[1,0,1] op_sel_hi:[1,1,0] neg_lo:[0,0,1] neg_hi:[0,0,1]
	v_pk_fma_f32 v[16:17], v[10:11], v[20:21], v[16:17] op_sel:[1,0,1] op_sel_hi:[1,1,0]
	v_mov_b32_e32 v21, v28
	s_waitcnt lgkmcnt(0)
	v_pk_mul_f32 v[6:7], v[6:7], v[70:71] op_sel_hi:[0,1]
	v_mov_b32_e32 v20, v4
	v_mov_b32_e32 v61, v15
	s_waitcnt vmcnt(0)
	v_pk_mul_f32 v[2:3], v[30:31], v[34:35] op_sel_hi:[0,1]
	v_pk_fma_f32 v[28:29], v[10:11], v[34:35], v[2:3] op_sel:[0,0,1] op_sel_hi:[1,1,0] neg_lo:[0,0,1] neg_hi:[0,0,1]
	v_pk_fma_f32 v[2:3], v[10:11], v[34:35], v[2:3] op_sel:[0,0,1] op_sel_hi:[0,1,0]
	v_pk_mul_f32 v[10:11], v[26:27], v[56:57] op_sel:[1,0]
	v_pk_mul_f32 v[24:25], v[24:25], v[32:33] op_sel_hi:[0,1]
	v_pk_mul_f32 v[26:27], v[26:27], v[54:55] op_sel_hi:[0,1]
	v_pk_fma_f32 v[30:31], v[12:13], v[56:57], v[10:11] op_sel:[0,0,1] op_sel_hi:[1,1,0] neg_lo:[0,0,1] neg_hi:[0,0,1]
	v_pk_fma_f32 v[10:11], v[14:15], v[56:57], v[10:11] op_sel:[0,0,1] op_sel_hi:[0,1,0]
	v_pk_fma_f32 v[34:35], v[18:19], v[70:71], v[6:7] op_sel:[0,0,1] op_sel_hi:[1,1,0] neg_lo:[0,0,1] neg_hi:[0,0,1]
	v_pk_fma_f32 v[6:7], v[18:19], v[70:71], v[6:7] op_sel:[0,0,1] op_sel_hi:[0,1,0]
	;; [unrolled: 2-line block ×4, first 2 shown]
	v_mov_b32_e32 v29, v3
	v_mov_b32_e32 v31, v11
	;; [unrolled: 1-line block ×6, first 2 shown]
	v_pk_add_f32 v[2:3], v[72:73], v[58:59] neg_lo:[0,1] neg_hi:[0,1]
	v_pk_add_f32 v[4:5], v[28:29], v[30:31] neg_lo:[0,1] neg_hi:[0,1]
	;; [unrolled: 1-line block ×8, first 2 shown]
	v_pk_fma_f32 v[20:21], v[20:21], 2.0, v[6:7] op_sel_hi:[1,0,1] neg_lo:[0,0,1] neg_hi:[0,0,1]
	v_pk_fma_f32 v[24:25], v[60:61], 2.0, v[10:11] op_sel_hi:[1,0,1] neg_lo:[0,0,1] neg_hi:[0,0,1]
	;; [unrolled: 1-line block ×8, first 2 shown]
	v_pk_add_f32 v[24:25], v[20:21], v[24:25] neg_lo:[0,1] neg_hi:[0,1]
	v_pk_add_f32 v[28:29], v[26:27], v[28:29] neg_lo:[0,1] neg_hi:[0,1]
	;; [unrolled: 1-line block ×4, first 2 shown]
	v_pk_fma_f32 v[20:21], v[20:21], 2.0, v[24:25] op_sel_hi:[1,0,1] neg_lo:[0,0,1] neg_hi:[0,0,1]
	v_pk_fma_f32 v[26:27], v[26:27], 2.0, v[28:29] op_sel_hi:[1,0,1] neg_lo:[0,0,1] neg_hi:[0,0,1]
	;; [unrolled: 1-line block ×4, first 2 shown]
	v_pk_add_f32 v[26:27], v[20:21], v[26:27] neg_lo:[0,1] neg_hi:[0,1]
	v_pk_add_f32 v[22:23], v[18:19], v[22:23] neg_lo:[0,1] neg_hi:[0,1]
	v_pk_fma_f32 v[20:21], v[20:21], 2.0, v[26:27] op_sel_hi:[1,0,1] neg_lo:[0,0,1] neg_hi:[0,0,1]
	v_pk_fma_f32 v[18:19], v[18:19], 2.0, v[22:23] op_sel_hi:[1,0,1] neg_lo:[0,0,1] neg_hi:[0,0,1]
	s_nop 0
	v_pk_add_f32 v[18:19], v[20:21], v[18:19] neg_lo:[0,1] neg_hi:[0,1]
	s_nop 0
	v_pk_fma_f32 v[20:21], v[20:21], 2.0, v[18:19] op_sel_hi:[1,0,1] neg_lo:[0,0,1] neg_hi:[0,0,1]
	global_store_dwordx2 v[0:1], v[20:21], off
	v_pk_add_f32 v[20:21], v[4:5], v[2:3] op_sel:[0,1] op_sel_hi:[1,0] neg_lo:[0,1] neg_hi:[0,1]
	v_pk_add_f32 v[2:3], v[4:5], v[2:3] op_sel:[0,1] op_sel_hi:[1,0]
	s_nop 0
	v_mov_b32_e32 v21, v3
	v_pk_add_f32 v[2:3], v[6:7], v[10:11] op_sel:[0,1] op_sel_hi:[1,0] neg_lo:[0,1] neg_hi:[0,1]
	v_pk_add_f32 v[10:11], v[6:7], v[10:11] op_sel:[0,1] op_sel_hi:[1,0]
	v_pk_fma_f32 v[4:5], v[4:5], 2.0, v[20:21] op_sel_hi:[1,0,1] neg_lo:[0,0,1] neg_hi:[0,0,1]
	v_mov_b32_e32 v3, v11
	v_pk_add_f32 v[10:11], v[14:15], v[12:13] op_sel:[0,1] op_sel_hi:[1,0] neg_lo:[0,1] neg_hi:[0,1]
	v_pk_add_f32 v[12:13], v[14:15], v[12:13] op_sel:[0,1] op_sel_hi:[1,0]
	v_pk_fma_f32 v[6:7], v[6:7], 2.0, v[2:3] op_sel_hi:[1,0,1] neg_lo:[0,0,1] neg_hi:[0,0,1]
	;; [unrolled: 4-line block ×3, first 2 shown]
	v_mov_b32_e32 v13, v17
	v_pk_mul_f32 v[16:17], v[4:5], s[0:1] op_sel_hi:[1,0]
	v_pk_fma_f32 v[4:5], v[4:5], s[0:1], v[6:7] op_sel_hi:[1,0,1] neg_lo:[1,0,0] neg_hi:[1,0,0]
	v_pk_fma_f32 v[8:9], v[8:9], 2.0, v[12:13] op_sel_hi:[1,0,1] neg_lo:[0,0,1] neg_hi:[0,0,1]
	v_pk_add_f32 v[34:35], v[4:5], v[16:17] op_sel:[0,1] op_sel_hi:[1,0] neg_lo:[0,1] neg_hi:[0,1]
	v_pk_add_f32 v[4:5], v[4:5], v[16:17] op_sel:[0,1] op_sel_hi:[1,0]
	v_pk_mul_f32 v[16:17], v[14:15], s[0:1] op_sel_hi:[1,0]
	v_pk_fma_f32 v[14:15], v[14:15], s[0:1], v[8:9] op_sel_hi:[1,0,1] neg_lo:[1,0,0] neg_hi:[1,0,0]
	v_mov_b32_e32 v35, v5
	v_pk_add_f32 v[36:37], v[14:15], v[16:17] op_sel:[0,1] op_sel_hi:[1,0] neg_lo:[0,1] neg_hi:[0,1]
	v_pk_add_f32 v[14:15], v[14:15], v[16:17] op_sel:[0,1] op_sel_hi:[1,0]
	v_fmamk_f32 v4, v36, 0x3ec3ef15, v34
	v_mov_b32_e32 v37, v15
	v_pk_fma_f32 v[8:9], v[8:9], 2.0, v[36:37] op_sel_hi:[1,0,1] neg_lo:[0,0,1] neg_hi:[0,0,1]
	v_pk_fma_f32 v[6:7], v[6:7], 2.0, v[34:35] op_sel_hi:[1,0,1] neg_lo:[0,0,1] neg_hi:[0,0,1]
	v_fmamk_f32 v17, v15, 0x3ec3ef15, v5
	v_fmamk_f32 v16, v15, 0xbf6c835e, v4
	v_pk_fma_f32 v[14:15], v[8:9], s[4:5], v[6:7] op_sel_hi:[1,0,1] neg_lo:[1,0,0] neg_hi:[1,0,0]
	v_pk_mul_f32 v[8:9], v[8:9], s[2:3] op_sel_hi:[1,0]
	v_fma_f32 v4, v34, 2.0, -v16
	v_pk_add_f32 v[34:35], v[14:15], v[8:9] op_sel:[0,1] op_sel_hi:[1,0] neg_lo:[0,1] neg_hi:[0,1]
	v_pk_add_f32 v[8:9], v[14:15], v[8:9] op_sel:[0,1] op_sel_hi:[1,0]
	v_pk_add_f32 v[14:15], v[32:33], v[30:31] op_sel:[0,1] op_sel_hi:[1,0]
	v_mov_b32_e32 v35, v9
	v_pk_fma_f32 v[6:7], v[6:7], 2.0, v[34:35] op_sel_hi:[1,0,1] neg_lo:[0,0,1] neg_hi:[0,0,1]
	global_store_dwordx2 v[0:1], v[6:7], off offset:88
	v_pk_add_f32 v[6:7], v[24:25], v[28:29] op_sel:[0,1] op_sel_hi:[1,0] neg_lo:[0,1] neg_hi:[0,1]
	v_pk_add_f32 v[8:9], v[24:25], v[28:29] op_sel:[0,1] op_sel_hi:[1,0]
	v_fmac_f32_e32 v17, 0x3f6c835e, v36
	v_mov_b32_e32 v7, v9
	v_pk_add_f32 v[8:9], v[32:33], v[30:31] op_sel:[0,1] op_sel_hi:[1,0] neg_lo:[0,1] neg_hi:[0,1]
	v_pk_fma_f32 v[24:25], v[24:25], 2.0, v[6:7] op_sel_hi:[1,0,1] neg_lo:[0,0,1] neg_hi:[0,0,1]
	v_mov_b32_e32 v9, v15
	v_pk_fma_f32 v[14:15], v[32:33], 2.0, v[8:9] op_sel_hi:[1,0,1] neg_lo:[0,0,1] neg_hi:[0,0,1]
	v_fma_f32 v5, v5, 2.0, -v17
	v_pk_mul_f32 v[28:29], v[14:15], s[0:1] op_sel_hi:[1,0]
	v_pk_fma_f32 v[14:15], v[14:15], s[0:1], v[24:25] op_sel_hi:[1,0,1] neg_lo:[1,0,0] neg_hi:[1,0,0]
	s_nop 0
	v_pk_add_f32 v[30:31], v[14:15], v[28:29] op_sel:[0,1] op_sel_hi:[1,0] neg_lo:[0,1] neg_hi:[0,1]
	v_pk_add_f32 v[14:15], v[14:15], v[28:29] op_sel:[0,1] op_sel_hi:[1,0]
	s_nop 0
	v_mov_b32_e32 v31, v15
	v_pk_fma_f32 v[14:15], v[24:25], 2.0, v[30:31] op_sel_hi:[1,0,1] neg_lo:[0,0,1] neg_hi:[0,0,1]
	global_store_dwordx2 v[0:1], v[14:15], off offset:176
	v_pk_mul_f32 v[14:15], v[20:21], s[0:1] op_sel_hi:[1,0]
	v_pk_fma_f32 v[20:21], v[20:21], s[0:1], v[2:3] op_sel_hi:[1,0,1]
	s_nop 0
	v_pk_add_f32 v[24:25], v[20:21], v[14:15] op_sel:[0,1] op_sel_hi:[1,0] neg_lo:[0,1] neg_hi:[0,1]
	v_pk_add_f32 v[14:15], v[20:21], v[14:15] op_sel:[0,1] op_sel_hi:[1,0]
	v_pk_mul_f32 v[20:21], v[10:11], s[0:1] op_sel_hi:[1,0]
	v_pk_fma_f32 v[10:11], v[10:11], s[0:1], v[12:13] op_sel_hi:[1,0,1]
	v_mov_b32_e32 v25, v15
	v_pk_add_f32 v[28:29], v[10:11], v[20:21] op_sel:[0,1] op_sel_hi:[1,0] neg_lo:[0,1] neg_hi:[0,1]
	v_pk_add_f32 v[10:11], v[10:11], v[20:21] op_sel:[0,1] op_sel_hi:[1,0]
	v_pk_fma_f32 v[2:3], v[2:3], 2.0, v[24:25] op_sel_hi:[1,0,1] neg_lo:[0,0,1] neg_hi:[0,0,1]
	v_mov_b32_e32 v29, v11
	v_fmamk_f32 v10, v28, 0x3f6c835e, v24
	v_fmamk_f32 v21, v11, 0x3f6c835e, v15
	v_fmamk_f32 v20, v11, 0xbec3ef15, v10
	v_pk_fma_f32 v[10:11], v[12:13], 2.0, v[28:29] op_sel_hi:[1,0,1] neg_lo:[0,0,1] neg_hi:[0,0,1]
	v_fma_f32 v14, v24, 2.0, -v20
	v_pk_fma_f32 v[12:13], v[10:11], s[2:3], v[2:3] op_sel_hi:[1,0,1] neg_lo:[1,0,0] neg_hi:[1,0,0]
	v_pk_mul_f32 v[10:11], v[10:11], s[4:5] op_sel_hi:[1,0]
	v_fmac_f32_e32 v21, 0x3ec3ef15, v28
	v_pk_add_f32 v[24:25], v[12:13], v[10:11] op_sel:[0,1] op_sel_hi:[1,0] neg_lo:[0,1] neg_hi:[0,1]
	v_pk_add_f32 v[10:11], v[12:13], v[10:11] op_sel:[0,1] op_sel_hi:[1,0]
	v_fma_f32 v15, v15, 2.0, -v21
	v_mov_b32_e32 v25, v11
	v_pk_fma_f32 v[2:3], v[2:3], 2.0, v[24:25] op_sel_hi:[1,0,1] neg_lo:[0,0,1] neg_hi:[0,0,1]
	global_store_dwordx2 v[0:1], v[2:3], off offset:264
	v_pk_add_f32 v[2:3], v[26:27], v[22:23] op_sel:[0,1] op_sel_hi:[1,0] neg_lo:[0,1] neg_hi:[0,1]
	v_pk_add_f32 v[10:11], v[26:27], v[22:23] op_sel:[0,1] op_sel_hi:[1,0]
	s_nop 0
	v_mov_b32_e32 v3, v11
	v_pk_fma_f32 v[10:11], v[26:27], 2.0, v[2:3] op_sel_hi:[1,0,1] neg_lo:[0,0,1] neg_hi:[0,0,1]
	global_store_dwordx2 v[0:1], v[10:11], off offset:352
	global_store_dwordx2 v[0:1], v[4:5], off offset:440
	v_pk_mul_f32 v[4:5], v[8:9], s[0:1] op_sel_hi:[1,0]
	v_pk_fma_f32 v[8:9], v[8:9], s[0:1], v[6:7] op_sel_hi:[1,0,1]
	s_nop 0
	v_pk_add_f32 v[10:11], v[8:9], v[4:5] op_sel:[0,1] op_sel_hi:[1,0] neg_lo:[0,1] neg_hi:[0,1]
	v_pk_add_f32 v[4:5], v[8:9], v[4:5] op_sel:[0,1] op_sel_hi:[1,0]
	s_nop 0
	v_mov_b32_e32 v11, v5
	v_pk_fma_f32 v[4:5], v[6:7], 2.0, v[10:11] op_sel_hi:[1,0,1] neg_lo:[0,0,1] neg_hi:[0,0,1]
	global_store_dwordx2 v[0:1], v[4:5], off offset:528
	global_store_dwordx2 v[0:1], v[14:15], off offset:616
	;; [unrolled: 1-line block ×10, first 2 shown]
	s_endpgm
	.section	.rodata,"a",@progbits
	.p2align	6, 0x0
	.amdhsa_kernel fft_rtc_fwd_len176_factors_11_16_wgs_64_tpt_16_halfLds_sp_ip_CI_unitstride_sbrr_dirReg
		.amdhsa_group_segment_fixed_size 0
		.amdhsa_private_segment_fixed_size 0
		.amdhsa_kernarg_size 88
		.amdhsa_user_sgpr_count 2
		.amdhsa_user_sgpr_dispatch_ptr 0
		.amdhsa_user_sgpr_queue_ptr 0
		.amdhsa_user_sgpr_kernarg_segment_ptr 1
		.amdhsa_user_sgpr_dispatch_id 0
		.amdhsa_user_sgpr_kernarg_preload_length 0
		.amdhsa_user_sgpr_kernarg_preload_offset 0
		.amdhsa_user_sgpr_private_segment_size 0
		.amdhsa_uses_dynamic_stack 0
		.amdhsa_enable_private_segment 0
		.amdhsa_system_sgpr_workgroup_id_x 1
		.amdhsa_system_sgpr_workgroup_id_y 0
		.amdhsa_system_sgpr_workgroup_id_z 0
		.amdhsa_system_sgpr_workgroup_info 0
		.amdhsa_system_vgpr_workitem_id 0
		.amdhsa_next_free_vgpr 84
		.amdhsa_next_free_sgpr 26
		.amdhsa_accum_offset 84
		.amdhsa_reserve_vcc 1
		.amdhsa_float_round_mode_32 0
		.amdhsa_float_round_mode_16_64 0
		.amdhsa_float_denorm_mode_32 3
		.amdhsa_float_denorm_mode_16_64 3
		.amdhsa_dx10_clamp 1
		.amdhsa_ieee_mode 1
		.amdhsa_fp16_overflow 0
		.amdhsa_tg_split 0
		.amdhsa_exception_fp_ieee_invalid_op 0
		.amdhsa_exception_fp_denorm_src 0
		.amdhsa_exception_fp_ieee_div_zero 0
		.amdhsa_exception_fp_ieee_overflow 0
		.amdhsa_exception_fp_ieee_underflow 0
		.amdhsa_exception_fp_ieee_inexact 0
		.amdhsa_exception_int_div_zero 0
	.end_amdhsa_kernel
	.text
.Lfunc_end0:
	.size	fft_rtc_fwd_len176_factors_11_16_wgs_64_tpt_16_halfLds_sp_ip_CI_unitstride_sbrr_dirReg, .Lfunc_end0-fft_rtc_fwd_len176_factors_11_16_wgs_64_tpt_16_halfLds_sp_ip_CI_unitstride_sbrr_dirReg
                                        ; -- End function
	.section	.AMDGPU.csdata,"",@progbits
; Kernel info:
; codeLenInByte = 5556
; NumSgprs: 32
; NumVgprs: 84
; NumAgprs: 0
; TotalNumVgprs: 84
; ScratchSize: 0
; MemoryBound: 0
; FloatMode: 240
; IeeeMode: 1
; LDSByteSize: 0 bytes/workgroup (compile time only)
; SGPRBlocks: 3
; VGPRBlocks: 10
; NumSGPRsForWavesPerEU: 32
; NumVGPRsForWavesPerEU: 84
; AccumOffset: 84
; Occupancy: 5
; WaveLimiterHint : 1
; COMPUTE_PGM_RSRC2:SCRATCH_EN: 0
; COMPUTE_PGM_RSRC2:USER_SGPR: 2
; COMPUTE_PGM_RSRC2:TRAP_HANDLER: 0
; COMPUTE_PGM_RSRC2:TGID_X_EN: 1
; COMPUTE_PGM_RSRC2:TGID_Y_EN: 0
; COMPUTE_PGM_RSRC2:TGID_Z_EN: 0
; COMPUTE_PGM_RSRC2:TIDIG_COMP_CNT: 0
; COMPUTE_PGM_RSRC3_GFX90A:ACCUM_OFFSET: 20
; COMPUTE_PGM_RSRC3_GFX90A:TG_SPLIT: 0
	.text
	.p2alignl 6, 3212836864
	.fill 256, 4, 3212836864
	.type	__hip_cuid_42ce817b8190578f,@object ; @__hip_cuid_42ce817b8190578f
	.section	.bss,"aw",@nobits
	.globl	__hip_cuid_42ce817b8190578f
__hip_cuid_42ce817b8190578f:
	.byte	0                               ; 0x0
	.size	__hip_cuid_42ce817b8190578f, 1

	.ident	"AMD clang version 19.0.0git (https://github.com/RadeonOpenCompute/llvm-project roc-6.4.0 25133 c7fe45cf4b819c5991fe208aaa96edf142730f1d)"
	.section	".note.GNU-stack","",@progbits
	.addrsig
	.addrsig_sym __hip_cuid_42ce817b8190578f
	.amdgpu_metadata
---
amdhsa.kernels:
  - .agpr_count:     0
    .args:
      - .actual_access:  read_only
        .address_space:  global
        .offset:         0
        .size:           8
        .value_kind:     global_buffer
      - .offset:         8
        .size:           8
        .value_kind:     by_value
      - .actual_access:  read_only
        .address_space:  global
        .offset:         16
        .size:           8
        .value_kind:     global_buffer
      - .actual_access:  read_only
        .address_space:  global
        .offset:         24
        .size:           8
        .value_kind:     global_buffer
      - .offset:         32
        .size:           8
        .value_kind:     by_value
      - .actual_access:  read_only
        .address_space:  global
        .offset:         40
        .size:           8
        .value_kind:     global_buffer
      - .actual_access:  read_only
        .address_space:  global
        .offset:         48
        .size:           8
        .value_kind:     global_buffer
      - .offset:         56
        .size:           4
        .value_kind:     by_value
      - .actual_access:  read_only
        .address_space:  global
        .offset:         64
        .size:           8
        .value_kind:     global_buffer
      - .actual_access:  read_only
        .address_space:  global
        .offset:         72
        .size:           8
        .value_kind:     global_buffer
      - .address_space:  global
        .offset:         80
        .size:           8
        .value_kind:     global_buffer
    .group_segment_fixed_size: 0
    .kernarg_segment_align: 8
    .kernarg_segment_size: 88
    .language:       OpenCL C
    .language_version:
      - 2
      - 0
    .max_flat_workgroup_size: 64
    .name:           fft_rtc_fwd_len176_factors_11_16_wgs_64_tpt_16_halfLds_sp_ip_CI_unitstride_sbrr_dirReg
    .private_segment_fixed_size: 0
    .sgpr_count:     32
    .sgpr_spill_count: 0
    .symbol:         fft_rtc_fwd_len176_factors_11_16_wgs_64_tpt_16_halfLds_sp_ip_CI_unitstride_sbrr_dirReg.kd
    .uniform_work_group_size: 1
    .uses_dynamic_stack: false
    .vgpr_count:     84
    .vgpr_spill_count: 0
    .wavefront_size: 64
amdhsa.target:   amdgcn-amd-amdhsa--gfx950
amdhsa.version:
  - 1
  - 2
...

	.end_amdgpu_metadata
